;; amdgpu-corpus repo=ROCm/rocFFT kind=compiled arch=gfx906 opt=O3
	.text
	.amdgcn_target "amdgcn-amd-amdhsa--gfx906"
	.amdhsa_code_object_version 6
	.protected	fft_rtc_back_len336_factors_6_7_8_wgs_336_tpt_56_half_ip_CI_sbcc_dirReg ; -- Begin function fft_rtc_back_len336_factors_6_7_8_wgs_336_tpt_56_half_ip_CI_sbcc_dirReg
	.globl	fft_rtc_back_len336_factors_6_7_8_wgs_336_tpt_56_half_ip_CI_sbcc_dirReg
	.p2align	8
	.type	fft_rtc_back_len336_factors_6_7_8_wgs_336_tpt_56_half_ip_CI_sbcc_dirReg,@function
fft_rtc_back_len336_factors_6_7_8_wgs_336_tpt_56_half_ip_CI_sbcc_dirReg: ; @fft_rtc_back_len336_factors_6_7_8_wgs_336_tpt_56_half_ip_CI_sbcc_dirReg
; %bb.0:
	s_load_dwordx4 s[0:3], s[4:5], 0x18
	s_mov_b32 s7, 0
	s_mov_b64 s[22:23], 0
	s_waitcnt lgkmcnt(0)
	s_load_dwordx2 s[16:17], s[0:1], 0x8
	s_waitcnt lgkmcnt(0)
	s_add_u32 s8, s16, -1
	s_addc_u32 s9, s17, -1
	s_add_u32 s10, 0, 0xaaa80000
	s_addc_u32 s11, 0, 0xaa
	s_mul_hi_u32 s13, s10, -6
	s_add_i32 s11, s11, 0x2aaaaa00
	s_sub_i32 s13, s13, s10
	s_mul_i32 s18, s11, -6
	s_mul_i32 s12, s10, -6
	s_add_i32 s13, s13, s18
	s_mul_hi_u32 s14, s11, s12
	s_mul_i32 s15, s11, s12
	s_mul_i32 s19, s10, s13
	s_mul_hi_u32 s12, s10, s12
	s_mul_hi_u32 s18, s10, s13
	s_add_u32 s12, s12, s19
	s_addc_u32 s18, 0, s18
	s_add_u32 s12, s12, s15
	s_mul_hi_u32 s19, s11, s13
	s_addc_u32 s12, s18, s14
	s_addc_u32 s14, s19, 0
	s_mul_i32 s13, s11, s13
	s_add_u32 s12, s12, s13
	v_mov_b32_e32 v1, s12
	s_addc_u32 s13, 0, s14
	v_add_co_u32_e32 v1, vcc, s10, v1
	s_cmp_lg_u64 vcc, 0
	s_addc_u32 s10, s11, s13
	v_readfirstlane_b32 s13, v1
	s_mul_i32 s12, s8, s10
	s_mul_hi_u32 s14, s8, s13
	s_mul_hi_u32 s11, s8, s10
	s_add_u32 s12, s14, s12
	s_addc_u32 s11, 0, s11
	s_mul_hi_u32 s15, s9, s13
	s_mul_i32 s13, s9, s13
	s_add_u32 s12, s12, s13
	s_mul_hi_u32 s14, s9, s10
	s_addc_u32 s11, s11, s15
	s_addc_u32 s12, s14, 0
	s_mul_i32 s10, s9, s10
	s_add_u32 s10, s11, s10
	s_addc_u32 s11, 0, s12
	s_add_u32 s12, s10, 1
	s_addc_u32 s13, s11, 0
	s_add_u32 s14, s10, 2
	s_mul_i32 s18, s11, 6
	s_mul_hi_u32 s19, s10, 6
	s_addc_u32 s15, s11, 0
	s_add_i32 s19, s19, s18
	s_mul_i32 s18, s10, 6
	v_mov_b32_e32 v1, s18
	v_sub_co_u32_e32 v1, vcc, s8, v1
	s_cmp_lg_u64 vcc, 0
	s_subb_u32 s8, s9, s19
	v_subrev_co_u32_e32 v2, vcc, 6, v1
	s_cmp_lg_u64 vcc, 0
	s_subb_u32 s9, s8, 0
	v_readfirstlane_b32 s18, v2
	s_cmp_gt_u32 s18, 5
	s_cselect_b32 s18, -1, 0
	s_cmp_eq_u32 s9, 0
	s_cselect_b32 s9, s18, -1
	s_cmp_lg_u32 s9, 0
	s_cselect_b32 s9, s14, s12
	s_cselect_b32 s12, s15, s13
	v_readfirstlane_b32 s13, v1
	s_cmp_gt_u32 s13, 5
	s_cselect_b32 s13, -1, 0
	s_cmp_eq_u32 s8, 0
	s_cselect_b32 s8, s13, -1
	s_cmp_lg_u32 s8, 0
	s_cselect_b32 s9, s9, s10
	s_cselect_b32 s8, s12, s11
	s_add_u32 s18, s9, 1
	s_addc_u32 s19, s8, 0
	v_mov_b32_e32 v1, s18
	v_mov_b32_e32 v2, s19
	v_cmp_lt_u64_e32 vcc, s[6:7], v[1:2]
	s_cbranch_vccnz .LBB0_2
; %bb.1:
	v_cvt_f32_u32_e32 v1, s18
	s_sub_i32 s8, 0, s18
	s_mov_b32 s23, s7
	v_rcp_iflag_f32_e32 v1, v1
	v_mul_f32_e32 v1, 0x4f7ffffe, v1
	v_cvt_u32_f32_e32 v1, v1
	v_readfirstlane_b32 s9, v1
	s_mul_i32 s8, s8, s9
	s_mul_hi_u32 s8, s9, s8
	s_add_i32 s9, s9, s8
	s_mul_hi_u32 s8, s6, s9
	s_mul_i32 s10, s8, s18
	s_sub_i32 s10, s6, s10
	s_add_i32 s9, s8, 1
	s_sub_i32 s11, s10, s18
	s_cmp_ge_u32 s10, s18
	s_cselect_b32 s8, s9, s8
	s_cselect_b32 s10, s11, s10
	s_add_i32 s9, s8, 1
	s_cmp_ge_u32 s10, s18
	s_cselect_b32 s22, s9, s8
.LBB0_2:
	s_load_dwordx2 s[14:15], s[4:5], 0x0
	s_load_dwordx4 s[8:11], s[2:3], 0x0
	s_load_dwordx2 s[12:13], s[4:5], 0x58
	s_load_dwordx2 s[20:21], s[4:5], 0x10
	s_mul_i32 s4, s22, s19
	s_mul_hi_u32 s5, s22, s18
	s_add_i32 s5, s5, s4
	s_mul_i32 s4, s22, s18
	s_sub_u32 s36, s6, s4
	s_subb_u32 s4, 0, s5
	s_mul_i32 s4, s4, 6
	s_mul_hi_u32 s33, s36, 6
	s_add_i32 s33, s33, s4
	s_mul_i32 s36, s36, 6
	s_waitcnt lgkmcnt(0)
	s_mul_i32 s4, s10, s33
	s_mul_hi_u32 s5, s10, s36
	s_add_i32 s4, s5, s4
	s_mul_i32 s5, s11, s36
	s_add_i32 s37, s4, s5
	v_cmp_lt_u64_e64 s[4:5], s[20:21], 3
	s_mul_i32 s38, s10, s36
	s_and_b64 vcc, exec, s[4:5]
	s_cbranch_vccnz .LBB0_12
; %bb.3:
	s_add_u32 s4, s2, 16
	s_addc_u32 s5, s3, 0
	s_add_u32 s24, s0, 16
	v_mov_b32_e32 v1, s20
	s_addc_u32 s25, s1, 0
	s_mov_b64 s[26:27], 2
	s_mov_b32 s28, 0
	v_mov_b32_e32 v2, s21
.LBB0_4:                                ; =>This Inner Loop Header: Depth=1
	s_load_dwordx2 s[30:31], s[24:25], 0x0
	s_waitcnt lgkmcnt(0)
	s_or_b64 s[0:1], s[22:23], s[30:31]
	s_mov_b32 s29, s1
	s_cmp_lg_u64 s[28:29], 0
	s_cbranch_scc0 .LBB0_9
; %bb.5:                                ;   in Loop: Header=BB0_4 Depth=1
	v_cvt_f32_u32_e32 v3, s30
	v_cvt_f32_u32_e32 v4, s31
	s_sub_u32 s0, 0, s30
	s_subb_u32 s1, 0, s31
	v_mac_f32_e32 v3, 0x4f800000, v4
	v_rcp_f32_e32 v3, v3
	v_mul_f32_e32 v3, 0x5f7ffffc, v3
	v_mul_f32_e32 v4, 0x2f800000, v3
	v_trunc_f32_e32 v4, v4
	v_mac_f32_e32 v3, 0xcf800000, v4
	v_cvt_u32_f32_e32 v4, v4
	v_cvt_u32_f32_e32 v3, v3
	v_readfirstlane_b32 s29, v4
	v_readfirstlane_b32 s34, v3
	s_mul_i32 s35, s0, s29
	s_mul_hi_u32 s40, s0, s34
	s_mul_i32 s39, s1, s34
	s_add_i32 s35, s40, s35
	s_mul_i32 s41, s0, s34
	s_add_i32 s35, s35, s39
	s_mul_hi_u32 s39, s34, s35
	s_mul_i32 s40, s34, s35
	s_mul_hi_u32 s34, s34, s41
	s_add_u32 s34, s34, s40
	s_addc_u32 s39, 0, s39
	s_mul_hi_u32 s42, s29, s41
	s_mul_i32 s41, s29, s41
	s_add_u32 s34, s34, s41
	s_mul_hi_u32 s40, s29, s35
	s_addc_u32 s34, s39, s42
	s_addc_u32 s39, s40, 0
	s_mul_i32 s35, s29, s35
	s_add_u32 s34, s34, s35
	s_addc_u32 s35, 0, s39
	v_add_co_u32_e32 v3, vcc, s34, v3
	s_cmp_lg_u64 vcc, 0
	s_addc_u32 s29, s29, s35
	v_readfirstlane_b32 s35, v3
	s_mul_i32 s34, s0, s29
	s_mul_hi_u32 s39, s0, s35
	s_add_i32 s34, s39, s34
	s_mul_i32 s1, s1, s35
	s_add_i32 s34, s34, s1
	s_mul_i32 s0, s0, s35
	s_mul_hi_u32 s39, s29, s0
	s_mul_i32 s40, s29, s0
	s_mul_i32 s42, s35, s34
	s_mul_hi_u32 s0, s35, s0
	s_mul_hi_u32 s41, s35, s34
	s_add_u32 s0, s0, s42
	s_addc_u32 s35, 0, s41
	s_add_u32 s0, s0, s40
	s_mul_hi_u32 s1, s29, s34
	s_addc_u32 s0, s35, s39
	s_addc_u32 s1, s1, 0
	s_mul_i32 s34, s29, s34
	s_add_u32 s0, s0, s34
	s_addc_u32 s1, 0, s1
	v_add_co_u32_e32 v3, vcc, s0, v3
	s_cmp_lg_u64 vcc, 0
	s_addc_u32 s0, s29, s1
	v_readfirstlane_b32 s34, v3
	s_mul_i32 s29, s22, s0
	s_mul_hi_u32 s35, s22, s34
	s_mul_hi_u32 s1, s22, s0
	s_add_u32 s29, s35, s29
	s_addc_u32 s1, 0, s1
	s_mul_hi_u32 s39, s23, s34
	s_mul_i32 s34, s23, s34
	s_add_u32 s29, s29, s34
	s_mul_hi_u32 s35, s23, s0
	s_addc_u32 s1, s1, s39
	s_addc_u32 s29, s35, 0
	s_mul_i32 s0, s23, s0
	s_add_u32 s34, s1, s0
	s_addc_u32 s29, 0, s29
	s_mul_i32 s0, s30, s29
	s_mul_hi_u32 s1, s30, s34
	s_add_i32 s0, s1, s0
	s_mul_i32 s1, s31, s34
	s_add_i32 s35, s0, s1
	s_mul_i32 s1, s30, s34
	v_mov_b32_e32 v3, s1
	s_sub_i32 s0, s23, s35
	v_sub_co_u32_e32 v3, vcc, s22, v3
	s_cmp_lg_u64 vcc, 0
	s_subb_u32 s39, s0, s31
	v_subrev_co_u32_e64 v4, s[0:1], s30, v3
	s_cmp_lg_u64 s[0:1], 0
	s_subb_u32 s0, s39, 0
	s_cmp_ge_u32 s0, s31
	v_readfirstlane_b32 s39, v4
	s_cselect_b32 s1, -1, 0
	s_cmp_ge_u32 s39, s30
	s_cselect_b32 s39, -1, 0
	s_cmp_eq_u32 s0, s31
	s_cselect_b32 s0, s39, s1
	s_add_u32 s1, s34, 1
	s_addc_u32 s39, s29, 0
	s_add_u32 s40, s34, 2
	s_addc_u32 s41, s29, 0
	s_cmp_lg_u32 s0, 0
	s_cselect_b32 s0, s40, s1
	s_cselect_b32 s1, s41, s39
	s_cmp_lg_u64 vcc, 0
	s_subb_u32 s35, s23, s35
	s_cmp_ge_u32 s35, s31
	v_readfirstlane_b32 s40, v3
	s_cselect_b32 s39, -1, 0
	s_cmp_ge_u32 s40, s30
	s_cselect_b32 s40, -1, 0
	s_cmp_eq_u32 s35, s31
	s_cselect_b32 s35, s40, s39
	s_cmp_lg_u32 s35, 0
	s_cselect_b32 s1, s1, s29
	s_cselect_b32 s0, s0, s34
	s_cbranch_execnz .LBB0_7
.LBB0_6:                                ;   in Loop: Header=BB0_4 Depth=1
	v_cvt_f32_u32_e32 v3, s30
	s_sub_i32 s0, 0, s30
	v_rcp_iflag_f32_e32 v3, v3
	v_mul_f32_e32 v3, 0x4f7ffffe, v3
	v_cvt_u32_f32_e32 v3, v3
	v_readfirstlane_b32 s1, v3
	s_mul_i32 s0, s0, s1
	s_mul_hi_u32 s0, s1, s0
	s_add_i32 s1, s1, s0
	s_mul_hi_u32 s0, s22, s1
	s_mul_i32 s29, s0, s30
	s_sub_i32 s29, s22, s29
	s_add_i32 s1, s0, 1
	s_sub_i32 s34, s29, s30
	s_cmp_ge_u32 s29, s30
	s_cselect_b32 s0, s1, s0
	s_cselect_b32 s29, s34, s29
	s_add_i32 s1, s0, 1
	s_cmp_ge_u32 s29, s30
	s_cselect_b32 s0, s1, s0
	s_mov_b32 s1, s28
.LBB0_7:                                ;   in Loop: Header=BB0_4 Depth=1
	s_mul_i32 s19, s30, s19
	s_mul_hi_u32 s29, s30, s18
	s_add_i32 s19, s29, s19
	s_mul_i32 s29, s31, s18
	s_add_i32 s19, s19, s29
	s_mul_i32 s29, s0, s31
	s_mul_hi_u32 s31, s0, s30
	s_load_dwordx2 s[34:35], s[4:5], 0x0
	s_add_i32 s29, s31, s29
	s_mul_i32 s31, s1, s30
	s_mul_i32 s18, s30, s18
	s_add_i32 s29, s29, s31
	s_mul_i32 s30, s0, s30
	s_sub_u32 s22, s22, s30
	s_subb_u32 s23, s23, s29
	s_waitcnt lgkmcnt(0)
	s_mul_i32 s23, s34, s23
	s_mul_hi_u32 s29, s34, s22
	s_add_i32 s23, s29, s23
	s_mul_i32 s29, s35, s22
	s_add_i32 s23, s23, s29
	s_mul_i32 s22, s34, s22
	s_add_u32 s38, s22, s38
	s_addc_u32 s37, s23, s37
	s_add_u32 s26, s26, 1
	s_addc_u32 s27, s27, 0
	;; [unrolled: 2-line block ×3, first 2 shown]
	v_cmp_ge_u64_e32 vcc, s[26:27], v[1:2]
	s_add_u32 s24, s24, 8
	s_addc_u32 s25, s25, 0
	s_cbranch_vccnz .LBB0_10
; %bb.8:                                ;   in Loop: Header=BB0_4 Depth=1
	s_mov_b64 s[22:23], s[0:1]
	s_branch .LBB0_4
.LBB0_9:                                ;   in Loop: Header=BB0_4 Depth=1
                                        ; implicit-def: $sgpr0_sgpr1
	s_branch .LBB0_6
.LBB0_10:
	v_mov_b32_e32 v1, s18
	v_mov_b32_e32 v2, s19
	v_cmp_lt_u64_e32 vcc, s[6:7], v[1:2]
	s_mov_b64 s[22:23], 0
	s_cbranch_vccnz .LBB0_12
; %bb.11:
	v_cvt_f32_u32_e32 v1, s18
	s_sub_i32 s0, 0, s18
	v_rcp_iflag_f32_e32 v1, v1
	v_mul_f32_e32 v1, 0x4f7ffffe, v1
	v_cvt_u32_f32_e32 v1, v1
	v_readfirstlane_b32 s1, v1
	s_mul_i32 s0, s0, s1
	s_mul_hi_u32 s0, s1, s0
	s_add_i32 s1, s1, s0
	s_mul_hi_u32 s0, s6, s1
	s_mul_i32 s4, s0, s18
	s_sub_i32 s4, s6, s4
	s_add_i32 s1, s0, 1
	s_sub_i32 s5, s4, s18
	s_cmp_ge_u32 s4, s18
	s_cselect_b32 s0, s1, s0
	s_cselect_b32 s4, s5, s4
	s_add_i32 s1, s0, 1
	s_cmp_ge_u32 s4, s18
	s_cselect_b32 s22, s1, s0
.LBB0_12:
	s_lshl_b64 s[0:1], s[20:21], 3
	s_add_u32 s0, s2, s0
	s_addc_u32 s1, s3, s1
	s_load_dwordx2 s[0:1], s[0:1], 0x0
	v_mul_u32_u24_e32 v1, 0x2aab, v0
	v_lshrrev_b32_e32 v9, 16, v1
	v_mul_lo_u16_e32 v1, 6, v9
	v_sub_u16_e32 v10, v0, v1
	s_waitcnt lgkmcnt(0)
	s_mul_i32 s1, s1, s22
	s_mul_hi_u32 s2, s0, s22
	s_mul_i32 s0, s0, s22
	s_add_i32 s2, s2, s1
	s_add_u32 s6, s0, s38
	s_addc_u32 s7, s2, s37
	s_add_u32 s4, s36, 6
	v_mov_b32_e32 v1, s16
	v_mov_b32_e32 v4, s33
	v_add_co_u32_e32 v3, vcc, s36, v10
	s_addc_u32 s5, s33, 0
	v_mov_b32_e32 v2, s17
	v_addc_co_u32_e32 v4, vcc, 0, v4, vcc
	v_cmp_le_u64_e64 s[2:3], s[4:5], v[1:2]
	v_cmp_gt_u64_e64 s[0:1], s[16:17], v[3:4]
	v_cmp_gt_u64_e32 vcc, s[4:5], v[1:2]
	s_or_b64 s[4:5], s[2:3], s[0:1]
                                        ; implicit-def: $vgpr5
                                        ; implicit-def: $vgpr6
                                        ; implicit-def: $vgpr2
                                        ; implicit-def: $vgpr1
                                        ; implicit-def: $vgpr3
                                        ; implicit-def: $vgpr4
	s_and_saveexec_b64 s[16:17], s[4:5]
	s_cbranch_execz .LBB0_14
; %bb.13:
	v_mad_u64_u32 v[1:2], s[4:5], s10, v10, 0
	v_mad_u64_u32 v[3:4], s[4:5], s8, v9, 0
	v_add_u32_e32 v8, 56, v9
	v_mad_u64_u32 v[5:6], s[4:5], s11, v10, v[2:3]
	v_mov_b32_e32 v2, v4
	v_mad_u64_u32 v[6:7], s[4:5], s9, v9, v[2:3]
	s_lshl_b64 s[4:5], s[6:7], 2
	s_add_u32 s18, s12, s4
	s_addc_u32 s4, s13, s5
	v_mov_b32_e32 v2, v5
	v_mov_b32_e32 v4, v6
	;; [unrolled: 1-line block ×3, first 2 shown]
	v_mad_u64_u32 v[5:6], s[4:5], s8, v8, 0
	v_lshlrev_b64 v[1:2], 2, v[1:2]
	v_add_co_u32_e64 v19, s[4:5], s18, v1
	v_addc_co_u32_e64 v20, s[4:5], v7, v2, s[4:5]
	v_lshlrev_b64 v[1:2], 2, v[3:4]
	v_mov_b32_e32 v3, v6
	v_mad_u64_u32 v[3:4], s[4:5], s9, v8, v[3:4]
	v_add_u32_e32 v4, 0x70, v9
	v_mad_u64_u32 v[7:8], s[4:5], s8, v4, 0
	v_add_co_u32_e64 v11, s[4:5], v19, v1
	v_mov_b32_e32 v6, v3
	v_mov_b32_e32 v3, v8
	v_addc_co_u32_e64 v12, s[4:5], v20, v2, s[4:5]
	v_lshlrev_b64 v[1:2], 2, v[5:6]
	v_mad_u64_u32 v[3:4], s[4:5], s9, v4, v[3:4]
	v_add_u32_e32 v6, 0xa8, v9
	v_mad_u64_u32 v[4:5], s[4:5], s8, v6, 0
	v_add_co_u32_e64 v13, s[4:5], v19, v1
	v_mov_b32_e32 v8, v3
	v_mov_b32_e32 v3, v5
	v_addc_co_u32_e64 v14, s[4:5], v20, v2, s[4:5]
	v_lshlrev_b64 v[1:2], 2, v[7:8]
	v_mad_u64_u32 v[5:6], s[4:5], s9, v6, v[3:4]
	v_add_u32_e32 v8, 0xe0, v9
	v_mad_u64_u32 v[6:7], s[4:5], s8, v8, 0
	v_add_co_u32_e64 v15, s[4:5], v19, v1
	v_mov_b32_e32 v3, v7
	v_addc_co_u32_e64 v16, s[4:5], v20, v2, s[4:5]
	v_lshlrev_b64 v[1:2], 2, v[4:5]
	v_mad_u64_u32 v[3:4], s[4:5], s9, v8, v[3:4]
	v_add_u32_e32 v8, 0x118, v9
	v_mad_u64_u32 v[4:5], s[4:5], s8, v8, 0
	v_add_co_u32_e64 v17, s[4:5], v19, v1
	v_mov_b32_e32 v7, v3
	v_mov_b32_e32 v3, v5
	v_addc_co_u32_e64 v18, s[4:5], v20, v2, s[4:5]
	v_lshlrev_b64 v[1:2], 2, v[6:7]
	v_mad_u64_u32 v[5:6], s[4:5], s9, v8, v[3:4]
	v_add_co_u32_e64 v7, s[4:5], v19, v1
	v_addc_co_u32_e64 v8, s[4:5], v20, v2, s[4:5]
	v_lshlrev_b64 v[1:2], 2, v[4:5]
	v_add_co_u32_e64 v19, s[4:5], v19, v1
	v_addc_co_u32_e64 v20, s[4:5], v20, v2, s[4:5]
	global_load_dword v5, v[11:12], off
	global_load_dword v1, v[13:14], off
	;; [unrolled: 1-line block ×6, first 2 shown]
.LBB0_14:
	s_or_b64 exec, exec, s[16:17]
	s_waitcnt vmcnt(1)
	v_add_f16_e32 v8, v6, v2
	v_fma_f16 v8, v8, -0.5, v5
	v_sub_f16_sdwa v11, v6, v2 dst_sel:DWORD dst_unused:UNUSED_PAD src0_sel:WORD_1 src1_sel:WORD_1
	s_mov_b32 s4, 0xbaee
	s_movk_i32 s5, 0x3aee
	v_pk_add_f16 v7, v5, v6
	v_fma_f16 v12, v11, s4, v8
	v_fma_f16 v8, v11, s5, v8
	v_add_f16_sdwa v11, v6, v2 dst_sel:DWORD dst_unused:UNUSED_PAD src0_sel:WORD_1 src1_sel:WORD_1
	v_lshrrev_b32_e32 v5, 16, v5
	v_fma_f16 v5, v11, -0.5, v5
	v_sub_f16_e32 v6, v6, v2
	v_fma_f16 v11, v6, s5, v5
	v_fma_f16 v13, v6, s4, v5
	s_waitcnt vmcnt(0)
	v_add_f16_e32 v6, v3, v4
	v_fma_f16 v6, v6, -0.5, v1
	v_sub_f16_sdwa v14, v3, v4 dst_sel:DWORD dst_unused:UNUSED_PAD src0_sel:WORD_1 src1_sel:WORD_1
	v_pk_add_f16 v5, v1, v3
	v_fma_f16 v15, v14, s4, v6
	v_fma_f16 v14, v14, s5, v6
	v_add_f16_sdwa v6, v3, v4 dst_sel:DWORD dst_unused:UNUSED_PAD src0_sel:WORD_1 src1_sel:WORD_1
	v_lshrrev_b32_e32 v1, 16, v1
	v_fma_f16 v1, v6, -0.5, v1
	v_sub_f16_e32 v3, v3, v4
	v_fma_f16 v6, v3, s5, v1
	v_fma_f16 v16, v3, s4, v1
	v_mul_f16_e32 v1, 0xbaee, v6
	v_pk_add_f16 v20, v5, v4
	v_mul_f16_e32 v4, 0x3aee, v15
	v_fma_f16 v17, v15, 0.5, v1
	v_mul_f16_e32 v1, 0xbaee, v16
	v_fma_f16 v15, v6, 0.5, v4
	v_mul_f16_e32 v4, -0.5, v16
	s_movk_i32 s4, 0x90
	v_add_f16_e32 v3, v12, v17
	v_fma_f16 v18, v14, -0.5, v1
	v_pk_add_f16 v19, v7, v2
	v_add_f16_e32 v6, v11, v15
	v_fma_f16 v14, v14, s5, v4
	v_sub_f16_e32 v15, v11, v15
	v_mad_u32_u24 v11, v9, s4, 0
	v_add_f16_e32 v1, v8, v18
	v_pk_add_f16 v2, v19, v20
	v_add_f16_e32 v7, v13, v14
	v_sub_f16_e32 v5, v12, v17
	v_sub_f16_e32 v4, v8, v18
	;; [unrolled: 1-line block ×3, first 2 shown]
	v_lshl_add_u32 v8, v10, 2, v11
	v_pack_b32_f16 v13, v3, v6
	ds_write2_b32 v8, v2, v13 offset1:6
	v_pack_b32_f16 v13, v1, v7
	v_pk_add_f16 v14, v19, v20 neg_lo:[0,1] neg_hi:[0,1]
	ds_write2_b32 v8, v13, v14 offset0:12 offset1:18
	v_pack_b32_f16 v13, v5, v15
	v_pack_b32_f16 v16, v4, v12
	s_movk_i32 s4, 0x120
	ds_write2_b32 v8, v13, v16 offset0:24 offset1:30
	v_cmp_gt_u32_e64 s[4:5], s4, v0
	v_lshrrev_b32_e32 v18, 16, v14
	v_lshlrev_b32_e32 v8, 2, v10
	s_waitcnt lgkmcnt(0)
	s_barrier
	s_waitcnt lgkmcnt(0)
                                        ; implicit-def: $vgpr17
                                        ; implicit-def: $vgpr16
	s_and_saveexec_b64 s[16:17], s[4:5]
	s_cbranch_execz .LBB0_16
; %bb.15:
	v_mul_i32_i24_e32 v1, 0xffffff88, v9
	v_add3_u32 v6, v11, v1, v8
	ds_read_b32 v2, v6
	ds_read_b32 v3, v6 offset:1152
	ds_read_b32 v1, v6 offset:2304
	ds_read_b32 v14, v6 offset:3456
	ds_read_b32 v5, v6 offset:4608
	ds_read_b32 v4, v6 offset:5760
	ds_read_b32 v16, v6 offset:6912
	s_waitcnt lgkmcnt(5)
	v_lshrrev_b32_e32 v6, 16, v3
	s_waitcnt lgkmcnt(4)
	v_lshrrev_b32_e32 v7, 16, v1
	;; [unrolled: 2-line block ×6, first 2 shown]
.LBB0_16:
	s_or_b64 exec, exec, s[16:17]
	v_mul_lo_u16_e32 v11, 43, v9
	v_lshrrev_b16_e32 v11, 8, v11
	v_mul_lo_u16_e32 v13, 6, v11
	v_sub_u16_e32 v13, v9, v13
	v_and_b32_e32 v13, 0xff, v13
	v_mul_u32_u24_e32 v19, 6, v13
	v_lshlrev_b32_e32 v25, 2, v19
	global_load_dwordx4 v[19:22], v25, s[14:15]
	global_load_dwordx2 v[23:24], v25, s[14:15] offset:16
	s_movk_i32 s20, 0x2b26
	s_movk_i32 s22, 0x39e0
	s_mov_b32 s21, 0xb9e0
	s_mov_b32 s17, 0xbb00
	;; [unrolled: 1-line block ×4, first 2 shown]
	s_movk_i32 s18, 0x3574
	s_waitcnt vmcnt(0)
	s_barrier
	v_mul_f16_sdwa v25, v6, v19 dst_sel:DWORD dst_unused:UNUSED_PAD src0_sel:DWORD src1_sel:WORD_1
	v_mul_f16_sdwa v26, v3, v19 dst_sel:DWORD dst_unused:UNUSED_PAD src0_sel:DWORD src1_sel:WORD_1
	;; [unrolled: 1-line block ×10, first 2 shown]
	v_fma_f16 v3, v3, v19, v25
	v_mul_f16_sdwa v25, v17, v24 dst_sel:DWORD dst_unused:UNUSED_PAD src0_sel:DWORD src1_sel:WORD_1
	v_fma_f16 v6, v6, v19, -v26
	v_mul_f16_sdwa v19, v16, v24 dst_sel:DWORD dst_unused:UNUSED_PAD src0_sel:DWORD src1_sel:WORD_1
	v_fma_f16 v1, v1, v20, v27
	v_fma_f16 v7, v7, v20, -v28
	v_fma_f16 v14, v14, v21, v29
	v_fma_f16 v18, v18, v21, -v30
	v_fma_f16 v5, v5, v22, v31
	v_fma_f16 v15, v15, v22, -v32
	v_fma_f16 v4, v4, v23, v33
	v_fma_f16 v12, v12, v23, -v34
	v_fma_f16 v16, v16, v24, v25
	v_fma_f16 v17, v17, v24, -v19
	v_add_f16_e32 v19, v3, v16
	v_add_f16_e32 v20, v6, v17
	v_sub_f16_e32 v3, v3, v16
	v_sub_f16_e32 v6, v6, v17
	v_add_f16_e32 v16, v1, v4
	v_add_f16_e32 v17, v7, v12
	v_sub_f16_e32 v1, v1, v4
	v_sub_f16_e32 v4, v7, v12
	;; [unrolled: 4-line block ×4, first 2 shown]
	v_sub_f16_e32 v19, v19, v7
	v_sub_f16_e32 v20, v20, v12
	;; [unrolled: 1-line block ×4, first 2 shown]
	v_add_f16_e32 v23, v5, v1
	v_add_f16_e32 v24, v14, v4
	v_sub_f16_e32 v25, v5, v1
	v_sub_f16_e32 v26, v14, v4
	;; [unrolled: 1-line block ×4, first 2 shown]
	v_add_f16_e32 v7, v7, v15
	v_add_f16_e32 v15, v12, v18
	v_mul_f16_e32 v1, 0x3a52, v19
	v_mul_f16_e32 v12, 0x3a52, v20
	;; [unrolled: 1-line block ×4, first 2 shown]
	v_sub_f16_e32 v5, v3, v5
	v_sub_f16_e32 v14, v6, v14
	v_add_f16_e32 v3, v23, v3
	v_add_f16_e32 v6, v24, v6
	v_mul_f16_e32 v20, 0x3846, v25
	v_mul_f16_e32 v23, 0x3846, v26
	;; [unrolled: 1-line block ×4, first 2 shown]
	v_fma_f16 v16, v16, s20, v1
	v_fma_f16 v17, v17, s20, v12
	v_fma_f16 v18, v21, s22, -v18
	v_fma_f16 v19, v22, s22, -v19
	;; [unrolled: 1-line block ×4, first 2 shown]
	v_add_f16_e32 v1, v2, v7
	v_add_f16_sdwa v12, v2, v15 dst_sel:DWORD dst_unused:UNUSED_PAD src0_sel:WORD_1 src1_sel:DWORD
	v_fma_f16 v2, v27, s17, -v20
	v_fma_f16 v20, v5, s19, v20
	v_fma_f16 v4, v4, s17, -v23
	v_fma_f16 v23, v14, s19, v23
	v_fma_f16 v7, v7, s16, v1
	;; [unrolled: 1-line block ×3, first 2 shown]
	v_fma_f16 v5, v5, s18, -v24
	v_fma_f16 v14, v14, s18, -v25
	s_mov_b32 s16, 0xb70e
	v_add_f16_e32 v24, v16, v7
	v_add_f16_e32 v25, v17, v15
	v_add_f16_e32 v17, v18, v7
	v_add_f16_e32 v18, v19, v15
	v_add_f16_e32 v7, v21, v7
	v_add_f16_e32 v19, v22, v15
	v_fma_f16 v20, v3, s16, v20
	v_fma_f16 v21, v6, s16, v23
	;; [unrolled: 1-line block ×6, first 2 shown]
	v_add_f16_e32 v2, v21, v24
	v_sub_f16_e32 v14, v25, v20
	v_add_f16_e32 v5, v26, v7
	v_sub_f16_e32 v15, v19, v23
	v_sub_f16_e32 v6, v17, v4
	v_add_f16_e32 v16, v22, v18
	v_add_f16_e32 v3, v4, v17
	v_sub_f16_e32 v17, v18, v22
	v_sub_f16_e32 v4, v7, v26
	v_add_f16_e32 v18, v23, v19
	v_sub_f16_e32 v7, v24, v21
	v_add_f16_e32 v19, v20, v25
	s_and_saveexec_b64 s[16:17], s[4:5]
	s_cbranch_execz .LBB0_18
; %bb.17:
	v_mad_u32_u24 v11, v11, 42, v13
	v_mul_u32_u24_e32 v11, 24, v11
	s_mov_b32 s4, 0x5040100
	v_add3_u32 v11, 0, v11, v8
	v_perm_b32 v13, v12, v1, s4
	v_perm_b32 v20, v14, v2, s4
	ds_write2_b32 v11, v13, v20 offset1:36
	v_perm_b32 v13, v15, v5, s4
	v_perm_b32 v20, v16, v6, s4
	ds_write2_b32 v11, v13, v20 offset0:72 offset1:108
	v_perm_b32 v13, v17, v3, s4
	v_perm_b32 v20, v18, v4, s4
	ds_write2_b32 v11, v13, v20 offset0:144 offset1:180
	v_perm_b32 v13, v19, v7, s4
	ds_write_b32 v11, v13 offset:864
.LBB0_18:
	s_or_b64 exec, exec, s[16:17]
	s_movk_i32 s4, 0xfc
	v_cmp_gt_u32_e64 s[4:5], s4, v0
	s_waitcnt lgkmcnt(0)
	s_barrier
	s_waitcnt lgkmcnt(0)
                                        ; implicit-def: $vgpr0
	s_and_saveexec_b64 s[16:17], s[4:5]
	s_cbranch_execz .LBB0_20
; %bb.19:
	v_mul_u32_u24_e32 v0, 24, v9
	v_add3_u32 v0, 0, v0, v8
	ds_read2_b32 v[1:2], v0 offset1:252
	v_add_u32_e32 v3, 0x7e0, v0
	v_add_u32_e32 v4, 0xfc0, v0
	;; [unrolled: 1-line block ×3, first 2 shown]
	ds_read2_b32 v[5:6], v3 offset1:252
	ds_read2_b32 v[3:4], v4 offset1:252
	;; [unrolled: 1-line block ×3, first 2 shown]
	s_waitcnt lgkmcnt(3)
	v_lshrrev_b32_e32 v12, 16, v1
	v_lshrrev_b32_e32 v14, 16, v2
	s_waitcnt lgkmcnt(2)
	v_lshrrev_b32_e32 v15, 16, v5
	v_lshrrev_b32_e32 v16, 16, v6
	;; [unrolled: 3-line block ×4, first 2 shown]
.LBB0_20:
	s_or_b64 exec, exec, s[16:17]
	v_mul_lo_u16_e32 v11, 49, v9
	v_lshrrev_b16_e32 v11, 11, v11
	v_mul_lo_u16_e32 v11, 42, v11
	v_sub_u16_e32 v11, v9, v11
	v_and_b32_e32 v11, 0xff, v11
	v_mad_u64_u32 v[27:28], s[14:15], v11, 28, s[14:15]
	s_mov_b32 s14, 0xb9a8
	s_movk_i32 s15, 0x39a8
	global_load_dwordx4 v[20:23], v[27:28], off offset:144
	global_load_dwordx3 v[24:26], v[27:28], off offset:160
	s_and_b64 s[2:3], s[4:5], s[2:3]
	s_waitcnt vmcnt(1)
	v_mul_f16_sdwa v11, v15, v21 dst_sel:DWORD dst_unused:UNUSED_PAD src0_sel:DWORD src1_sel:WORD_1
	v_mul_f16_sdwa v13, v16, v22 dst_sel:DWORD dst_unused:UNUSED_PAD src0_sel:DWORD src1_sel:WORD_1
	;; [unrolled: 1-line block ×8, first 2 shown]
	v_fma_f16 v5, v5, v21, v11
	v_fma_f16 v6, v6, v22, v13
	s_waitcnt vmcnt(0)
	v_mul_f16_sdwa v11, v18, v24 dst_sel:DWORD dst_unused:UNUSED_PAD src0_sel:DWORD src1_sel:WORD_1
	v_mul_f16_sdwa v13, v4, v24 dst_sel:DWORD dst_unused:UNUSED_PAD src0_sel:DWORD src1_sel:WORD_1
	v_fma_f16 v15, v15, v21, -v27
	v_mul_f16_sdwa v21, v19, v25 dst_sel:DWORD dst_unused:UNUSED_PAD src0_sel:DWORD src1_sel:WORD_1
	v_fma_f16 v16, v16, v22, -v28
	v_mul_f16_sdwa v22, v7, v25 dst_sel:DWORD dst_unused:UNUSED_PAD src0_sel:DWORD src1_sel:WORD_1
	v_mul_f16_sdwa v27, v0, v26 dst_sel:DWORD dst_unused:UNUSED_PAD src0_sel:DWORD src1_sel:WORD_1
	;; [unrolled: 1-line block ×3, first 2 shown]
	v_fma_f16 v14, v14, v20, -v29
	v_fma_f16 v17, v17, v23, -v31
	v_fma_f16 v2, v2, v20, v30
	v_fma_f16 v3, v3, v23, v32
	;; [unrolled: 1-line block ×3, first 2 shown]
	v_fma_f16 v11, v18, v24, -v13
	v_fma_f16 v13, v19, v25, -v22
	v_fma_f16 v7, v7, v25, v21
	v_fma_f16 v8, v8, v26, v27
	v_fma_f16 v0, v0, v26, -v28
	v_sub_f16_e32 v3, v1, v3
	v_sub_f16_e32 v17, v12, v17
	;; [unrolled: 1-line block ×8, first 2 shown]
	v_fma_f16 v1, v1, 2.0, -v3
	v_fma_f16 v12, v12, 2.0, -v17
	v_fma_f16 v5, v5, 2.0, -v7
	v_fma_f16 v15, v15, 2.0, -v13
	v_fma_f16 v2, v2, 2.0, -v4
	v_fma_f16 v14, v14, 2.0, -v11
	v_fma_f16 v6, v6, 2.0, -v8
	v_fma_f16 v16, v16, 2.0, -v0
	v_add_f16_e32 v18, v3, v13
	v_sub_f16_e32 v19, v17, v7
	v_add_f16_e32 v7, v4, v0
	v_sub_f16_e32 v0, v11, v8
	v_sub_f16_e32 v8, v1, v5
	;; [unrolled: 1-line block ×3, first 2 shown]
	v_fma_f16 v15, v3, 2.0, -v18
	v_fma_f16 v20, v17, 2.0, -v19
	v_sub_f16_e32 v3, v2, v6
	v_sub_f16_e32 v5, v14, v16
	v_fma_f16 v16, v4, 2.0, -v7
	v_fma_f16 v4, v11, 2.0, -v0
	v_fma_f16 v6, v7, s15, v18
	v_fma_f16 v11, v0, s15, v19
	v_fma_f16 v17, v1, 2.0, -v8
	v_fma_f16 v21, v12, 2.0, -v13
	;; [unrolled: 1-line block ×4, first 2 shown]
	v_fma_f16 v22, v16, s14, v15
	v_fma_f16 v23, v4, s14, v20
	v_add_f16_e32 v2, v8, v5
	v_sub_f16_e32 v3, v13, v3
	v_fma_f16 v0, v0, s15, v6
	v_fma_f16 v1, v7, s14, v11
	v_sub_f16_e32 v6, v17, v12
	v_sub_f16_e32 v7, v21, v14
	v_fma_f16 v4, v4, s15, v22
	v_fma_f16 v5, v16, s14, v23
	v_fma_f16 v12, v8, 2.0, -v2
	v_fma_f16 v13, v13, 2.0, -v3
	;; [unrolled: 1-line block ×8, first 2 shown]
	s_and_saveexec_b64 s[14:15], s[2:3]
	s_cbranch_execz .LBB0_22
; %bb.21:
	v_mad_u64_u32 v[18:19], s[2:3], s10, v10, 0
	v_mad_u64_u32 v[20:21], s[2:3], s8, v9, 0
	s_mov_b32 s16, 0x5040100
	v_add_u32_e32 v27, 0x7e, v9
	v_mad_u64_u32 v[22:23], s[2:3], s11, v10, v[19:20]
	v_mov_b32_e32 v19, v21
	v_mad_u64_u32 v[23:24], s[2:3], s9, v9, v[19:20]
	v_mov_b32_e32 v19, v22
	s_lshl_b64 s[2:3], s[6:7], 2
	s_add_u32 s2, s12, s2
	v_lshlrev_b64 v[18:19], 2, v[18:19]
	s_addc_u32 s3, s13, s3
	v_mov_b32_e32 v22, s3
	v_add_co_u32_e64 v24, s[2:3], s2, v18
	v_mov_b32_e32 v21, v23
	v_addc_co_u32_e64 v25, s[2:3], v22, v19, s[2:3]
	v_add_u32_e32 v22, 42, v9
	v_lshlrev_b64 v[18:19], 2, v[20:21]
	v_mad_u64_u32 v[20:21], s[2:3], s8, v22, 0
	v_add_co_u32_e64 v18, s[2:3], v24, v18
	v_addc_co_u32_e64 v19, s[2:3], v25, v19, s[2:3]
	v_mad_u64_u32 v[21:22], s[2:3], s9, v22, v[21:22]
	v_perm_b32 v22, v17, v16, s16
	global_store_dword v[18:19], v22, off
	v_add_u32_e32 v22, 0x54, v9
	v_lshlrev_b64 v[18:19], 2, v[20:21]
	v_mad_u64_u32 v[20:21], s[2:3], s8, v22, 0
	v_add_co_u32_e64 v18, s[2:3], v24, v18
	v_addc_co_u32_e64 v19, s[2:3], v25, v19, s[2:3]
	v_mad_u64_u32 v[21:22], s[2:3], s9, v22, v[21:22]
	v_mad_u64_u32 v[22:23], s[2:3], s8, v27, 0
	v_perm_b32 v26, v15, v14, s16
	global_store_dword v[18:19], v26, off
	v_lshlrev_b64 v[18:19], 2, v[20:21]
	v_mov_b32_e32 v20, v23
	v_mad_u64_u32 v[20:21], s[2:3], s9, v27, v[20:21]
	v_add_co_u32_e64 v18, s[2:3], v24, v18
	v_addc_co_u32_e64 v19, s[2:3], v25, v19, s[2:3]
	v_perm_b32 v21, v13, v12, s16
	v_mov_b32_e32 v23, v20
	global_store_dword v[18:19], v21, off
	v_lshlrev_b64 v[18:19], 2, v[22:23]
	v_add_u32_e32 v22, 0xa8, v9
	v_mad_u64_u32 v[20:21], s[2:3], s8, v22, 0
	v_add_co_u32_e64 v18, s[2:3], v24, v18
	v_addc_co_u32_e64 v19, s[2:3], v25, v19, s[2:3]
	v_mad_u64_u32 v[21:22], s[2:3], s9, v22, v[21:22]
	v_add_u32_e32 v27, 0xd2, v9
	v_mad_u64_u32 v[22:23], s[2:3], s8, v27, 0
	v_perm_b32 v26, v11, v8, s16
	global_store_dword v[18:19], v26, off
	v_lshlrev_b64 v[18:19], 2, v[20:21]
	v_mov_b32_e32 v20, v23
	v_mad_u64_u32 v[20:21], s[2:3], s9, v27, v[20:21]
	v_add_co_u32_e64 v18, s[2:3], v24, v18
	v_addc_co_u32_e64 v19, s[2:3], v25, v19, s[2:3]
	v_perm_b32 v21, v7, v6, s16
	v_mov_b32_e32 v23, v20
	global_store_dword v[18:19], v21, off
	v_lshlrev_b64 v[18:19], 2, v[22:23]
	v_add_u32_e32 v22, 0xfc, v9
	v_mad_u64_u32 v[20:21], s[2:3], s8, v22, 0
	v_add_co_u32_e64 v18, s[2:3], v24, v18
	v_addc_co_u32_e64 v19, s[2:3], v25, v19, s[2:3]
	v_mad_u64_u32 v[21:22], s[2:3], s9, v22, v[21:22]
	v_add_u32_e32 v27, 0x126, v9
	v_mad_u64_u32 v[22:23], s[2:3], s8, v27, 0
	v_perm_b32 v26, v5, v4, s16
	global_store_dword v[18:19], v26, off
	v_lshlrev_b64 v[18:19], 2, v[20:21]
	v_mov_b32_e32 v20, v23
	v_mad_u64_u32 v[20:21], s[2:3], s9, v27, v[20:21]
	v_add_co_u32_e64 v18, s[2:3], v24, v18
	v_addc_co_u32_e64 v19, s[2:3], v25, v19, s[2:3]
	v_perm_b32 v21, v3, v2, s16
	v_mov_b32_e32 v23, v20
	global_store_dword v[18:19], v21, off
	v_lshlrev_b64 v[18:19], 2, v[22:23]
	v_perm_b32 v20, v1, v0, s16
	v_add_co_u32_e64 v18, s[2:3], v24, v18
	v_addc_co_u32_e64 v19, s[2:3], v25, v19, s[2:3]
	global_store_dword v[18:19], v20, off
.LBB0_22:
	s_or_b64 exec, exec, s[14:15]
	s_andn2_b64 vcc, exec, vcc
	s_cbranch_vccnz .LBB0_25
; %bb.23:
	s_and_b64 s[0:1], s[4:5], s[0:1]
	s_and_saveexec_b64 s[2:3], s[0:1]
	s_cbranch_execz .LBB0_25
; %bb.24:
	v_mad_u64_u32 v[18:19], s[0:1], s10, v10, 0
	v_mad_u64_u32 v[20:21], s[0:1], s8, v9, 0
	s_mov_b32 s2, 0x5040100
	v_add_u32_e32 v25, 0x7e, v9
	v_mad_u64_u32 v[22:23], s[0:1], s11, v10, v[19:20]
	v_mov_b32_e32 v10, v21
	v_mad_u64_u32 v[23:24], s[0:1], s9, v9, v[10:11]
	v_mov_b32_e32 v19, v22
	s_lshl_b64 s[0:1], s[6:7], 2
	s_add_u32 s0, s12, s0
	v_lshlrev_b64 v[18:19], 2, v[18:19]
	s_addc_u32 s1, s13, s1
	v_mov_b32_e32 v21, v23
	v_mov_b32_e32 v10, s1
	v_add_co_u32_e32 v23, vcc, s0, v18
	v_add_u32_e32 v22, 42, v9
	v_addc_co_u32_e32 v24, vcc, v10, v19, vcc
	v_lshlrev_b64 v[18:19], 2, v[20:21]
	v_mad_u64_u32 v[20:21], s[0:1], s8, v22, 0
	v_add_co_u32_e32 v18, vcc, v23, v18
	v_mov_b32_e32 v10, v21
	v_mad_u64_u32 v[21:22], s[0:1], s9, v22, v[10:11]
	v_addc_co_u32_e32 v19, vcc, v24, v19, vcc
	v_perm_b32 v10, v17, v16, s2
	v_lshlrev_b64 v[16:17], 2, v[20:21]
	v_add_u32_e32 v20, 0x54, v9
	global_store_dword v[18:19], v10, off
	v_mad_u64_u32 v[18:19], s[0:1], s8, v20, 0
	v_perm_b32 v22, v15, v14, s2
	v_add_co_u32_e32 v16, vcc, v23, v16
	v_mov_b32_e32 v10, v19
	v_mad_u64_u32 v[14:15], s[0:1], s9, v20, v[10:11]
	v_mad_u64_u32 v[20:21], s[0:1], s8, v25, 0
	v_mov_b32_e32 v19, v14
	v_lshlrev_b64 v[14:15], 2, v[18:19]
	v_addc_co_u32_e32 v17, vcc, v24, v17, vcc
	v_mov_b32_e32 v10, v21
	v_add_co_u32_e32 v14, vcc, v23, v14
	global_store_dword v[16:17], v22, off
	v_mad_u64_u32 v[16:17], s[0:1], s9, v25, v[10:11]
	v_addc_co_u32_e32 v15, vcc, v24, v15, vcc
	v_perm_b32 v10, v13, v12, s2
	global_store_dword v[14:15], v10, off
	v_add_u32_e32 v10, 0xa8, v9
	v_mad_u64_u32 v[14:15], s[0:1], s8, v10, 0
	v_perm_b32 v18, v11, v8, s2
	v_mov_b32_e32 v21, v16
	v_mov_b32_e32 v8, v15
	v_mad_u64_u32 v[10:11], s[0:1], s9, v10, v[8:9]
	v_add_u32_e32 v19, 0xd2, v9
	v_lshlrev_b64 v[12:13], 2, v[20:21]
	v_mad_u64_u32 v[16:17], s[0:1], s8, v19, 0
	v_mov_b32_e32 v15, v10
	v_add_co_u32_e32 v12, vcc, v23, v12
	v_lshlrev_b64 v[10:11], 2, v[14:15]
	v_addc_co_u32_e32 v13, vcc, v24, v13, vcc
	v_mov_b32_e32 v8, v17
	v_add_co_u32_e32 v10, vcc, v23, v10
	global_store_dword v[12:13], v18, off
	v_mad_u64_u32 v[12:13], s[0:1], s9, v19, v[8:9]
	v_addc_co_u32_e32 v11, vcc, v24, v11, vcc
	v_perm_b32 v6, v7, v6, s2
	v_add_u32_e32 v8, 0xfc, v9
	global_store_dword v[10:11], v6, off
	v_mad_u64_u32 v[10:11], s[0:1], s8, v8, 0
	v_mov_b32_e32 v17, v12
	v_perm_b32 v12, v5, v4, s2
	v_mov_b32_e32 v4, v11
	v_add_u32_e32 v13, 0x126, v9
	v_lshlrev_b64 v[6:7], 2, v[16:17]
	v_mad_u64_u32 v[4:5], s[0:1], s9, v8, v[4:5]
	v_mad_u64_u32 v[8:9], s[0:1], s8, v13, 0
	v_add_co_u32_e32 v6, vcc, v23, v6
	v_addc_co_u32_e32 v7, vcc, v24, v7, vcc
	global_store_dword v[6:7], v12, off
	v_mov_b32_e32 v6, v9
	v_mov_b32_e32 v11, v4
	v_mad_u64_u32 v[6:7], s[0:1], s9, v13, v[6:7]
	v_lshlrev_b64 v[4:5], 2, v[10:11]
	v_perm_b32 v2, v3, v2, s2
	v_add_co_u32_e32 v4, vcc, v23, v4
	v_addc_co_u32_e32 v5, vcc, v24, v5, vcc
	v_mov_b32_e32 v9, v6
	global_store_dword v[4:5], v2, off
	v_lshlrev_b64 v[2:3], 2, v[8:9]
	v_perm_b32 v0, v1, v0, s2
	v_add_co_u32_e32 v2, vcc, v23, v2
	v_addc_co_u32_e32 v3, vcc, v24, v3, vcc
	global_store_dword v[2:3], v0, off
.LBB0_25:
	s_endpgm
	.section	.rodata,"a",@progbits
	.p2align	6, 0x0
	.amdhsa_kernel fft_rtc_back_len336_factors_6_7_8_wgs_336_tpt_56_half_ip_CI_sbcc_dirReg
		.amdhsa_group_segment_fixed_size 0
		.amdhsa_private_segment_fixed_size 0
		.amdhsa_kernarg_size 96
		.amdhsa_user_sgpr_count 6
		.amdhsa_user_sgpr_private_segment_buffer 1
		.amdhsa_user_sgpr_dispatch_ptr 0
		.amdhsa_user_sgpr_queue_ptr 0
		.amdhsa_user_sgpr_kernarg_segment_ptr 1
		.amdhsa_user_sgpr_dispatch_id 0
		.amdhsa_user_sgpr_flat_scratch_init 0
		.amdhsa_user_sgpr_private_segment_size 0
		.amdhsa_uses_dynamic_stack 0
		.amdhsa_system_sgpr_private_segment_wavefront_offset 0
		.amdhsa_system_sgpr_workgroup_id_x 1
		.amdhsa_system_sgpr_workgroup_id_y 0
		.amdhsa_system_sgpr_workgroup_id_z 0
		.amdhsa_system_sgpr_workgroup_info 0
		.amdhsa_system_vgpr_workitem_id 0
		.amdhsa_next_free_vgpr 35
		.amdhsa_next_free_sgpr 43
		.amdhsa_reserve_vcc 1
		.amdhsa_reserve_flat_scratch 0
		.amdhsa_float_round_mode_32 0
		.amdhsa_float_round_mode_16_64 0
		.amdhsa_float_denorm_mode_32 3
		.amdhsa_float_denorm_mode_16_64 3
		.amdhsa_dx10_clamp 1
		.amdhsa_ieee_mode 1
		.amdhsa_fp16_overflow 0
		.amdhsa_exception_fp_ieee_invalid_op 0
		.amdhsa_exception_fp_denorm_src 0
		.amdhsa_exception_fp_ieee_div_zero 0
		.amdhsa_exception_fp_ieee_overflow 0
		.amdhsa_exception_fp_ieee_underflow 0
		.amdhsa_exception_fp_ieee_inexact 0
		.amdhsa_exception_int_div_zero 0
	.end_amdhsa_kernel
	.text
.Lfunc_end0:
	.size	fft_rtc_back_len336_factors_6_7_8_wgs_336_tpt_56_half_ip_CI_sbcc_dirReg, .Lfunc_end0-fft_rtc_back_len336_factors_6_7_8_wgs_336_tpt_56_half_ip_CI_sbcc_dirReg
                                        ; -- End function
	.section	.AMDGPU.csdata,"",@progbits
; Kernel info:
; codeLenInByte = 5400
; NumSgprs: 47
; NumVgprs: 35
; ScratchSize: 0
; MemoryBound: 0
; FloatMode: 240
; IeeeMode: 1
; LDSByteSize: 0 bytes/workgroup (compile time only)
; SGPRBlocks: 5
; VGPRBlocks: 8
; NumSGPRsForWavesPerEU: 47
; NumVGPRsForWavesPerEU: 35
; Occupancy: 7
; WaveLimiterHint : 1
; COMPUTE_PGM_RSRC2:SCRATCH_EN: 0
; COMPUTE_PGM_RSRC2:USER_SGPR: 6
; COMPUTE_PGM_RSRC2:TRAP_HANDLER: 0
; COMPUTE_PGM_RSRC2:TGID_X_EN: 1
; COMPUTE_PGM_RSRC2:TGID_Y_EN: 0
; COMPUTE_PGM_RSRC2:TGID_Z_EN: 0
; COMPUTE_PGM_RSRC2:TIDIG_COMP_CNT: 0
	.type	__hip_cuid_af50db68535f3756,@object ; @__hip_cuid_af50db68535f3756
	.section	.bss,"aw",@nobits
	.globl	__hip_cuid_af50db68535f3756
__hip_cuid_af50db68535f3756:
	.byte	0                               ; 0x0
	.size	__hip_cuid_af50db68535f3756, 1

	.ident	"AMD clang version 19.0.0git (https://github.com/RadeonOpenCompute/llvm-project roc-6.4.0 25133 c7fe45cf4b819c5991fe208aaa96edf142730f1d)"
	.section	".note.GNU-stack","",@progbits
	.addrsig
	.addrsig_sym __hip_cuid_af50db68535f3756
	.amdgpu_metadata
---
amdhsa.kernels:
  - .args:
      - .actual_access:  read_only
        .address_space:  global
        .offset:         0
        .size:           8
        .value_kind:     global_buffer
      - .address_space:  global
        .offset:         8
        .size:           8
        .value_kind:     global_buffer
      - .offset:         16
        .size:           8
        .value_kind:     by_value
      - .actual_access:  read_only
        .address_space:  global
        .offset:         24
        .size:           8
        .value_kind:     global_buffer
      - .actual_access:  read_only
        .address_space:  global
        .offset:         32
        .size:           8
        .value_kind:     global_buffer
      - .offset:         40
        .size:           8
        .value_kind:     by_value
      - .actual_access:  read_only
        .address_space:  global
        .offset:         48
        .size:           8
        .value_kind:     global_buffer
      - .actual_access:  read_only
        .address_space:  global
        .offset:         56
        .size:           8
        .value_kind:     global_buffer
      - .offset:         64
        .size:           4
        .value_kind:     by_value
      - .actual_access:  read_only
        .address_space:  global
        .offset:         72
        .size:           8
        .value_kind:     global_buffer
      - .actual_access:  read_only
        .address_space:  global
        .offset:         80
        .size:           8
        .value_kind:     global_buffer
      - .address_space:  global
        .offset:         88
        .size:           8
        .value_kind:     global_buffer
    .group_segment_fixed_size: 0
    .kernarg_segment_align: 8
    .kernarg_segment_size: 96
    .language:       OpenCL C
    .language_version:
      - 2
      - 0
    .max_flat_workgroup_size: 336
    .name:           fft_rtc_back_len336_factors_6_7_8_wgs_336_tpt_56_half_ip_CI_sbcc_dirReg
    .private_segment_fixed_size: 0
    .sgpr_count:     47
    .sgpr_spill_count: 0
    .symbol:         fft_rtc_back_len336_factors_6_7_8_wgs_336_tpt_56_half_ip_CI_sbcc_dirReg.kd
    .uniform_work_group_size: 1
    .uses_dynamic_stack: false
    .vgpr_count:     35
    .vgpr_spill_count: 0
    .wavefront_size: 64
amdhsa.target:   amdgcn-amd-amdhsa--gfx906
amdhsa.version:
  - 1
  - 2
...

	.end_amdgpu_metadata
